;; amdgpu-corpus repo=triton-lang/triton kind=triton arch=gfx950 opt=O3 lang=triton
	.amdgcn_target "amdgcn-amd-amdhsa--gfx950"
	.amdhsa_code_object_version 5
	.text
	.globl	_masked_compaction              ; -- Begin function _masked_compaction
	.p2align	8
	.type	_masked_compaction,@function
_masked_compaction:                     ; @_masked_compaction
.Lfunc_begin0:
	.cfi_sections .debug_frame
	.cfi_startproc
; %bb.3:
	.file	1 "/root/src/amdgpu-assembly/repos/triton-lang__triton-aot" "masked_compaction.py"
	.loc	1 8 0 prologue_end              ; masked_compaction.py:8:0
	s_load_dwordx2 s[2:3], s[0:1], 0x0
	s_load_dwordx8 s[4:11], s[0:1], 0x8
	s_load_dwordx2 s[12:13], s[0:1], 0x28
	s_load_dword s14, s[0:1], 0x30
	s_waitcnt lgkmcnt(0)
	s_branch .LBB0_0
	.loc	1 0 0 is_stmt 0                 ; :0:0
.Ltmp0:
	.p2align	8
; %bb.4:
.LBB0_0:
.Ltmp1:
	.loc	1 10 30 is_stmt 1               ; masked_compaction.py:10:30
	s_lshl_b32 s20, s15, 5
	.loc	1 11 22                         ; masked_compaction.py:11:22
	s_ashr_i32 s21, s20, 31
	s_lshl_b64 s[0:1], s[20:21], 2
	s_add_u32 s16, s4, s0
	.loc	1 10 47                         ; masked_compaction.py:10:47
	v_and_b32_e32 v1, 31, v0
	.loc	1 11 22                         ; masked_compaction.py:11:22
	s_addc_u32 s4, s5, s1
	.loc	1 11 17 is_stmt 0               ; masked_compaction.py:11:17
	s_and_b32 s17, s4, 0xffff
	s_mov_b32 s19, 0x27000
	s_mov_b32 s18, 0x7ffffffe
	v_lshlrev_b32_e32 v2, 2, v1
	buffer_load_dword v2, v2, s[16:19], 0 offen
	.loc	1 14 45 is_stmt 1               ; masked_compaction.py:14:45
	s_mul_i32 s4, s8, s15
	.loc	1 14 37 is_stmt 0               ; masked_compaction.py:14:37
	s_ashr_i32 s5, s4, 31
	s_lshl_b64 s[4:5], s[4:5], 2
	s_add_u32 s4, s6, s4
	s_addc_u32 s5, s7, s5
	.loc	1 12 16 is_stmt 1               ; masked_compaction.py:12:16
	s_waitcnt vmcnt(0)
	v_ashrrev_i32_e32 v3, 31, v2
	v_lshrrev_b32_e32 v3, 27, v3
	v_add_u32_e32 v3, v2, v3
	v_ashrrev_i32_e32 v3, 5, v3
	.loc	1 14 63                         ; masked_compaction.py:14:63
	v_mul_lo_u32 v4, v3, s9
	.loc	1 14 57 is_stmt 0               ; masked_compaction.py:14:57
	v_ashrrev_i32_e32 v5, 31, v4
	v_lshl_add_u64 v[4:5], v[4:5], 2, s[4:5]
	.loc	1 14 27                         ; masked_compaction.py:14:27
	global_load_dword v3, v[4:5], off
	.loc	1 10 47 is_stmt 1               ; masked_compaction.py:10:47
	v_and_b32_e32 v5, 63, v0
.Ltmp2:
	.file	2 "/root/.local/lib/python3.13/site-packages/triton/language" "standard.py"
	.loc	2 343 60                        ; standard.py:343:60 @[ masked_compaction.py:15:40 ]
	v_sub_u32_e64 v4, v5, 1 clamp
.Ltmp3:
	.loc	1 14 77                         ; masked_compaction.py:14:77
	v_and_b32_e32 v7, 31, v2
.Ltmp4:
	.loc	2 343 60                        ; standard.py:343:60 @[ masked_compaction.py:15:40 ]
	v_lshlrev_b32_e32 v4, 2, v4
	v_lshlrev_b32_e32 v6, 2, v5
	v_cmp_gt_u32_e32 vcc, 2, v5
	v_add_u32_e32 v8, -16, v6
.Ltmp5:
	.loc	1 22 45                         ; masked_compaction.py:22:45
	v_readfirstlane_b32 s4, v0
	.loc	1 21 45                         ; masked_compaction.py:21:45
	v_and_b32_e32 v0, 32, v0
	.loc	1 14 84                         ; masked_compaction.py:14:84
	s_waitcnt vmcnt(0)
	v_bfe_u32 v3, v3, v7, 1
.Ltmp6:
	.loc	2 343 60                        ; standard.py:343:60 @[ masked_compaction.py:15:40 ]
	ds_bpermute_b32 v4, v4, v3
	v_add_u32_e32 v7, -8, v6
	v_cndmask_b32_e32 v7, v7, v6, vcc
	v_cmp_ne_u32_e32 vcc, 0, v1
.Ltmp7:
	.loc	1 21 45                         ; masked_compaction.py:21:45
	v_and_or_b32 v0, s4, 64, v0
.Ltmp8:
	.loc	2 343 60                        ; standard.py:343:60 @[ masked_compaction.py:15:40 ]
	s_waitcnt lgkmcnt(0)
	v_cndmask_b32_e32 v4, 0, v4, vcc
	v_add_u32_e32 v4, v3, v4
	ds_bpermute_b32 v7, v7, v4
	v_cmp_gt_u32_e32 vcc, 4, v5
	s_nop 1
	v_cndmask_b32_e32 v8, v8, v6, vcc
	v_cmp_lt_u32_e32 vcc, 1, v1
	s_waitcnt lgkmcnt(0)
	s_nop 0
	v_cndmask_b32_e32 v7, 0, v7, vcc
	v_add_u32_e32 v4, v4, v7
	ds_bpermute_b32 v7, v8, v4
	v_subrev_u32_e32 v8, 32, v6
	v_cmp_gt_u32_e32 vcc, 8, v5
	s_nop 1
	v_cndmask_b32_e32 v8, v8, v6, vcc
	v_cmp_lt_u32_e32 vcc, 3, v1
	s_waitcnt lgkmcnt(0)
	s_nop 0
	v_cndmask_b32_e32 v7, 0, v7, vcc
	v_add_u32_e32 v4, v4, v7
	ds_bpermute_b32 v7, v8, v4
	v_cmp_lt_u32_e32 vcc, 7, v1
	v_subrev_u32_e32 v8, 64, v6
	s_waitcnt lgkmcnt(0)
	v_cndmask_b32_e32 v7, 0, v7, vcc
	v_cmp_gt_u32_e32 vcc, 16, v5
	v_add_u32_e32 v4, v4, v7
	s_nop 0
	v_cndmask_b32_e32 v5, v8, v6, vcc
	ds_bpermute_b32 v5, v5, v4
.Ltmp9:
	.loc	1 21 45                         ; masked_compaction.py:21:45
	v_cmp_eq_u32_e32 vcc, 0, v0
	s_and_saveexec_b64 s[4:5], vcc
	s_cbranch_execz .LBB0_2
; %bb.1:
	.loc	1 10 22                         ; masked_compaction.py:10:22
	s_lshl_b64 s[4:5], s[20:21], 1
	s_add_u32 s16, s2, s4
	s_addc_u32 s2, s3, s5
	.loc	1 10 17 is_stmt 0               ; masked_compaction.py:10:17
	s_and_b32 s17, s2, 0xffff
	v_lshlrev_b32_e32 v0, 1, v1
	buffer_load_ushort v6, v0, s[16:19], 0 offen
.Ltmp10:
	.loc	2 343 60 is_stmt 1              ; standard.py:343:60 @[ masked_compaction.py:15:40 ]
	v_cmp_lt_u32_e32 vcc, 15, v1
.Ltmp11:
	.loc	1 19 36                         ; masked_compaction.py:19:36
	v_cvt_f32_i32_e32 v8, s14
	.loc	1 20 36                         ; masked_compaction.py:20:36
	v_mov_b32_e32 v7, s14
.Ltmp12:
	.loc	2 343 60                        ; standard.py:343:60 @[ masked_compaction.py:15:40 ]
	s_waitcnt lgkmcnt(0)
	v_cndmask_b32_e32 v0, 0, v5, vcc
.Ltmp13:
	.loc	1 17 51                         ; masked_compaction.py:17:51
	v_xor_b32_e32 v5, 31, v1
	.loc	1 16 34                         ; masked_compaction.py:16:34
	v_cmp_eq_u32_e32 vcc, 0, v3
	.loc	1 21 21                         ; masked_compaction.py:21:21
	s_add_u32 s2, s10, s4
	s_addc_u32 s3, s11, s5
	.loc	1 17 43                         ; masked_compaction.py:17:43
	v_cndmask_b32_e32 v5, 0, v5, vcc
	.loc	1 20 36                         ; masked_compaction.py:20:36
	v_cndmask_b32_e32 v7, v2, v7, vcc
.Ltmp14:
	.loc	2 343 60                        ; standard.py:343:60 @[ masked_compaction.py:15:40 ]
	v_sub_u32_e32 v2, v5, v3
.Ltmp15:
	.loc	1 18 30                         ; masked_compaction.py:18:30
	v_add3_u32 v0, v2, v0, v4
	.loc	1 19 36                         ; masked_compaction.py:19:36
	v_cvt_f16_f32_e32 v4, v8
	.loc	1 21 33                         ; masked_compaction.py:21:33
	v_mov_b32_e32 v1, 0
	.loc	1 22 21                         ; masked_compaction.py:22:21
	s_add_u32 s0, s12, s0
	.loc	1 21 33                         ; masked_compaction.py:21:33
	v_lshl_add_u64 v[2:3], v[0:1], 1, s[2:3]
	.loc	1 22 21                         ; masked_compaction.py:22:21
	s_addc_u32 s1, s13, s1
	.loc	1 22 33 is_stmt 0               ; masked_compaction.py:22:33
	v_lshl_add_u64 v[0:1], v[0:1], 2, s[0:1]
	.loc	1 19 36 is_stmt 1               ; masked_compaction.py:19:36
	s_waitcnt vmcnt(0)
	v_cndmask_b32_e32 v4, v6, v4, vcc
	.loc	1 21 45                         ; masked_compaction.py:21:45
	global_store_short v[2:3], v4, off
	.loc	1 22 45                         ; masked_compaction.py:22:45
	global_store_dword v[0:1], v7, off
.LBB0_2:                                ; %.critedge
	.loc	1 22 4                          ; masked_compaction.py:22:4
	s_endpgm
.Ltmp16:
	.section	.rodata,"a",@progbits
	.p2align	6, 0x0
	.amdhsa_kernel _masked_compaction
		.amdhsa_group_segment_fixed_size 0
		.amdhsa_private_segment_fixed_size 0
		.amdhsa_kernarg_size 72
		.amdhsa_user_sgpr_count 15
		.amdhsa_user_sgpr_dispatch_ptr 0
		.amdhsa_user_sgpr_queue_ptr 0
		.amdhsa_user_sgpr_kernarg_segment_ptr 1
		.amdhsa_user_sgpr_dispatch_id 0
		.amdhsa_user_sgpr_kernarg_preload_length 13
		.amdhsa_user_sgpr_kernarg_preload_offset 0
		.amdhsa_user_sgpr_private_segment_size 0
		.amdhsa_uses_dynamic_stack 0
		.amdhsa_enable_private_segment 0
		.amdhsa_system_sgpr_workgroup_id_x 1
		.amdhsa_system_sgpr_workgroup_id_y 0
		.amdhsa_system_sgpr_workgroup_id_z 0
		.amdhsa_system_sgpr_workgroup_info 0
		.amdhsa_system_vgpr_workitem_id 0
		.amdhsa_next_free_vgpr 9
		.amdhsa_next_free_sgpr 22
		.amdhsa_accum_offset 12
		.amdhsa_reserve_vcc 1
		.amdhsa_reserve_xnack_mask 1
		.amdhsa_float_round_mode_32 0
		.amdhsa_float_round_mode_16_64 0
		.amdhsa_float_denorm_mode_32 3
		.amdhsa_float_denorm_mode_16_64 3
		.amdhsa_dx10_clamp 1
		.amdhsa_ieee_mode 1
		.amdhsa_fp16_overflow 0
		.amdhsa_tg_split 0
		.amdhsa_exception_fp_ieee_invalid_op 0
		.amdhsa_exception_fp_denorm_src 0
		.amdhsa_exception_fp_ieee_div_zero 0
		.amdhsa_exception_fp_ieee_overflow 0
		.amdhsa_exception_fp_ieee_underflow 0
		.amdhsa_exception_fp_ieee_inexact 0
		.amdhsa_exception_int_div_zero 0
	.end_amdhsa_kernel
	.text
.Lfunc_end0:
	.size	_masked_compaction, .Lfunc_end0-_masked_compaction
	.cfi_endproc
                                        ; -- End function
	.set _masked_compaction.num_vgpr, 9
	.set _masked_compaction.num_agpr, 0
	.set _masked_compaction.numbered_sgpr, 22
	.set _masked_compaction.num_named_barrier, 0
	.set _masked_compaction.private_seg_size, 0
	.set _masked_compaction.uses_vcc, 1
	.set _masked_compaction.uses_flat_scratch, 0
	.set _masked_compaction.has_dyn_sized_stack, 0
	.set _masked_compaction.has_recursion, 0
	.set _masked_compaction.has_indirect_call, 0
	.section	.AMDGPU.csdata,"",@progbits
; Kernel info:
; codeLenInByte = 768
; TotalNumSgprs: 28
; NumVgprs: 9
; NumAgprs: 0
; TotalNumVgprs: 9
; ScratchSize: 0
; MemoryBound: 0
; FloatMode: 240
; IeeeMode: 1
; LDSByteSize: 0 bytes/workgroup (compile time only)
; SGPRBlocks: 3
; VGPRBlocks: 1
; NumSGPRsForWavesPerEU: 28
; NumVGPRsForWavesPerEU: 9
; AccumOffset: 12
; Occupancy: 8
; WaveLimiterHint : 1
; COMPUTE_PGM_RSRC2:SCRATCH_EN: 0
; COMPUTE_PGM_RSRC2:USER_SGPR: 15
; COMPUTE_PGM_RSRC2:TRAP_HANDLER: 0
; COMPUTE_PGM_RSRC2:TGID_X_EN: 1
; COMPUTE_PGM_RSRC2:TGID_Y_EN: 0
; COMPUTE_PGM_RSRC2:TGID_Z_EN: 0
; COMPUTE_PGM_RSRC2:TIDIG_COMP_CNT: 0
; COMPUTE_PGM_RSRC3_GFX90A:ACCUM_OFFSET: 2
; COMPUTE_PGM_RSRC3_GFX90A:TG_SPLIT: 0
	.text
	.p2alignl 6, 3212836864
	.fill 256, 4, 3212836864
	.section	.AMDGPU.gpr_maximums,"",@progbits
	.set amdgpu.max_num_vgpr, 0
	.set amdgpu.max_num_agpr, 0
	.set amdgpu.max_num_sgpr, 0
	.set amdgpu.max_num_named_barrier, 0
	.text
	.section	.debug_abbrev,"",@progbits
	.byte	1                               ; Abbreviation Code
	.byte	17                              ; DW_TAG_compile_unit
	.byte	1                               ; DW_CHILDREN_yes
	.byte	37                              ; DW_AT_producer
	.byte	14                              ; DW_FORM_strp
	.byte	19                              ; DW_AT_language
	.byte	5                               ; DW_FORM_data2
	.byte	3                               ; DW_AT_name
	.byte	14                              ; DW_FORM_strp
	.byte	16                              ; DW_AT_stmt_list
	.byte	23                              ; DW_FORM_sec_offset
	.byte	27                              ; DW_AT_comp_dir
	.byte	14                              ; DW_FORM_strp
	.byte	17                              ; DW_AT_low_pc
	.byte	1                               ; DW_FORM_addr
	.byte	18                              ; DW_AT_high_pc
	.byte	6                               ; DW_FORM_data4
	.byte	0                               ; EOM(1)
	.byte	0                               ; EOM(2)
	.byte	2                               ; Abbreviation Code
	.byte	46                              ; DW_TAG_subprogram
	.byte	0                               ; DW_CHILDREN_no
	.byte	3                               ; DW_AT_name
	.byte	14                              ; DW_FORM_strp
	.byte	32                              ; DW_AT_inline
	.byte	11                              ; DW_FORM_data1
	.byte	0                               ; EOM(1)
	.byte	0                               ; EOM(2)
	.byte	3                               ; Abbreviation Code
	.byte	46                              ; DW_TAG_subprogram
	.byte	1                               ; DW_CHILDREN_yes
	.byte	17                              ; DW_AT_low_pc
	.byte	1                               ; DW_FORM_addr
	.byte	18                              ; DW_AT_high_pc
	.byte	6                               ; DW_FORM_data4
	.byte	49                              ; DW_AT_abstract_origin
	.byte	19                              ; DW_FORM_ref4
	.byte	0                               ; EOM(1)
	.byte	0                               ; EOM(2)
	.byte	4                               ; Abbreviation Code
	.byte	29                              ; DW_TAG_inlined_subroutine
	.byte	0                               ; DW_CHILDREN_no
	.byte	49                              ; DW_AT_abstract_origin
	.byte	19                              ; DW_FORM_ref4
	.byte	85                              ; DW_AT_ranges
	.byte	23                              ; DW_FORM_sec_offset
	.byte	88                              ; DW_AT_call_file
	.byte	11                              ; DW_FORM_data1
	.byte	89                              ; DW_AT_call_line
	.byte	11                              ; DW_FORM_data1
	.byte	87                              ; DW_AT_call_column
	.byte	11                              ; DW_FORM_data1
	.byte	0                               ; EOM(1)
	.byte	0                               ; EOM(2)
	.byte	0                               ; EOM(3)
	.section	.debug_info,"",@progbits
.Lcu_begin0:
	.long	.Ldebug_info_end0-.Ldebug_info_start0 ; Length of Unit
.Ldebug_info_start0:
	.short	4                               ; DWARF version number
	.long	.debug_abbrev                   ; Offset Into Abbrev. Section
	.byte	8                               ; Address Size (in bytes)
	.byte	1                               ; Abbrev [1] 0xb:0x44 DW_TAG_compile_unit
	.long	.Linfo_string0                  ; DW_AT_producer
	.short	2                               ; DW_AT_language
	.long	.Linfo_string1                  ; DW_AT_name
	.long	.Lline_table_start0             ; DW_AT_stmt_list
	.long	.Linfo_string2                  ; DW_AT_comp_dir
	.quad	.Lfunc_begin0                   ; DW_AT_low_pc
	.long	.Lfunc_end0-.Lfunc_begin0       ; DW_AT_high_pc
	.byte	2                               ; Abbrev [2] 0x2a:0x6 DW_TAG_subprogram
	.long	.Linfo_string3                  ; DW_AT_name
	.byte	1                               ; DW_AT_inline
	.byte	3                               ; Abbrev [3] 0x30:0x1e DW_TAG_subprogram
	.quad	.Lfunc_begin0                   ; DW_AT_low_pc
	.long	.Lfunc_end0-.Lfunc_begin0       ; DW_AT_high_pc
	.long	42                              ; DW_AT_abstract_origin
	.byte	4                               ; Abbrev [4] 0x41:0xc DW_TAG_inlined_subroutine
	.long	42                              ; DW_AT_abstract_origin
	.long	.Ldebug_ranges0                 ; DW_AT_ranges
	.byte	1                               ; DW_AT_call_file
	.byte	15                              ; DW_AT_call_line
	.byte	40                              ; DW_AT_call_column
	.byte	0                               ; End Of Children Mark
	.byte	0                               ; End Of Children Mark
.Ldebug_info_end0:
	.section	.debug_ranges,"",@progbits
.Ldebug_ranges0:
	.quad	.Ltmp2-.Lfunc_begin0
	.quad	.Ltmp3-.Lfunc_begin0
	;; [unrolled: 1-line block ×14, first 2 shown]
	.quad	0
	.quad	0
	.section	.debug_str,"MS",@progbits,1
.Linfo_string0:
	.asciz	"triton"                        ; string offset=0
.Linfo_string1:
	.asciz	"masked_compaction.py"          ; string offset=7
.Linfo_string2:
	.asciz	"/root/src/amdgpu-assembly/repos/triton-lang__triton-aot" ; string offset=28
.Linfo_string3:
	.asciz	"_masked_compaction"            ; string offset=84
	.section	".note.GNU-stack","",@progbits
	.amdgpu_metadata
---
amdhsa.kernels:
  - .agpr_count:     0
    .args:
      - .address_space:  global
        .offset:         0
        .size:           8
        .value_kind:     global_buffer
      - .address_space:  global
        .offset:         8
        .size:           8
        .value_kind:     global_buffer
      - .address_space:  global
        .offset:         16
        .size:           8
        .value_kind:     global_buffer
      - .offset:         24
        .size:           4
        .value_kind:     by_value
      - .offset:         28
        .size:           4
        .value_kind:     by_value
      - .address_space:  global
        .offset:         32
        .size:           8
        .value_kind:     global_buffer
      - .address_space:  global
        .offset:         40
        .size:           8
        .value_kind:     global_buffer
      - .offset:         48
        .size:           4
        .value_kind:     by_value
      - .address_space:  global
        .offset:         56
        .size:           8
        .value_kind:     global_buffer
      - .address_space:  global
        .offset:         64
        .size:           8
        .value_kind:     global_buffer
    .group_segment_fixed_size: 0
    .kernarg_segment_align: 8
    .kernarg_segment_size: 72
    .max_flat_workgroup_size: 128
    .name:           _masked_compaction
    .private_segment_fixed_size: 0
    .sgpr_count:     28
    .sgpr_spill_count: 0
    .symbol:         _masked_compaction.kd
    .uniform_work_group_size: 1
    .uses_dynamic_stack: false
    .vgpr_count:     9
    .vgpr_spill_count: 0
    .wavefront_size: 64
amdhsa.target:   amdgcn-amd-amdhsa--gfx950
amdhsa.version:
  - 1
  - 2
...

	.end_amdgpu_metadata
	.section	.debug_line,"",@progbits
.Lline_table_start0:
